;; amdgpu-corpus repo=ROCm/rocFFT kind=compiled arch=gfx1030 opt=O3
	.text
	.amdgcn_target "amdgcn-amd-amdhsa--gfx1030"
	.amdhsa_code_object_version 6
	.protected	fft_rtc_fwd_len968_factors_2_2_2_11_11_wgs_176_tpt_88_sp_ip_CI_unitstride_sbrr_C2R_dirReg ; -- Begin function fft_rtc_fwd_len968_factors_2_2_2_11_11_wgs_176_tpt_88_sp_ip_CI_unitstride_sbrr_C2R_dirReg
	.globl	fft_rtc_fwd_len968_factors_2_2_2_11_11_wgs_176_tpt_88_sp_ip_CI_unitstride_sbrr_C2R_dirReg
	.p2align	8
	.type	fft_rtc_fwd_len968_factors_2_2_2_11_11_wgs_176_tpt_88_sp_ip_CI_unitstride_sbrr_C2R_dirReg,@function
fft_rtc_fwd_len968_factors_2_2_2_11_11_wgs_176_tpt_88_sp_ip_CI_unitstride_sbrr_C2R_dirReg: ; @fft_rtc_fwd_len968_factors_2_2_2_11_11_wgs_176_tpt_88_sp_ip_CI_unitstride_sbrr_C2R_dirReg
; %bb.0:
	s_clause 0x2
	s_load_dwordx4 s[8:11], s[4:5], 0x0
	s_load_dwordx2 s[2:3], s[4:5], 0x50
	s_load_dwordx2 s[12:13], s[4:5], 0x18
	v_mul_u32_u24_e32 v1, 0x2e9, v0
	v_mov_b32_e32 v3, 0
	v_lshrrev_b32_e32 v9, 16, v1
	v_mov_b32_e32 v1, 0
	v_mov_b32_e32 v6, v3
	v_mov_b32_e32 v2, 0
	v_lshl_add_u32 v5, s6, 1, v9
	s_waitcnt lgkmcnt(0)
	v_cmp_lt_u64_e64 s0, s[10:11], 2
	s_and_b32 vcc_lo, exec_lo, s0
	s_cbranch_vccnz .LBB0_8
; %bb.1:
	s_load_dwordx2 s[0:1], s[4:5], 0x10
	v_mov_b32_e32 v1, 0
	s_add_u32 s6, s12, 8
	v_mov_b32_e32 v2, 0
	s_addc_u32 s7, s13, 0
	s_mov_b64 s[16:17], 1
	s_waitcnt lgkmcnt(0)
	s_add_u32 s14, s0, 8
	s_addc_u32 s15, s1, 0
.LBB0_2:                                ; =>This Inner Loop Header: Depth=1
	s_load_dwordx2 s[18:19], s[14:15], 0x0
                                        ; implicit-def: $vgpr7_vgpr8
	s_mov_b32 s0, exec_lo
	s_waitcnt lgkmcnt(0)
	v_or_b32_e32 v4, s19, v6
	v_cmpx_ne_u64_e32 0, v[3:4]
	s_xor_b32 s1, exec_lo, s0
	s_cbranch_execz .LBB0_4
; %bb.3:                                ;   in Loop: Header=BB0_2 Depth=1
	v_cvt_f32_u32_e32 v4, s18
	v_cvt_f32_u32_e32 v7, s19
	s_sub_u32 s0, 0, s18
	s_subb_u32 s20, 0, s19
	v_fmac_f32_e32 v4, 0x4f800000, v7
	v_rcp_f32_e32 v4, v4
	v_mul_f32_e32 v4, 0x5f7ffffc, v4
	v_mul_f32_e32 v7, 0x2f800000, v4
	v_trunc_f32_e32 v7, v7
	v_fmac_f32_e32 v4, 0xcf800000, v7
	v_cvt_u32_f32_e32 v7, v7
	v_cvt_u32_f32_e32 v4, v4
	v_mul_lo_u32 v8, s0, v7
	v_mul_hi_u32 v10, s0, v4
	v_mul_lo_u32 v11, s20, v4
	v_add_nc_u32_e32 v8, v10, v8
	v_mul_lo_u32 v10, s0, v4
	v_add_nc_u32_e32 v8, v8, v11
	v_mul_hi_u32 v11, v4, v10
	v_mul_lo_u32 v12, v4, v8
	v_mul_hi_u32 v13, v4, v8
	v_mul_hi_u32 v14, v7, v10
	v_mul_lo_u32 v10, v7, v10
	v_mul_hi_u32 v15, v7, v8
	v_mul_lo_u32 v8, v7, v8
	v_add_co_u32 v11, vcc_lo, v11, v12
	v_add_co_ci_u32_e32 v12, vcc_lo, 0, v13, vcc_lo
	v_add_co_u32 v10, vcc_lo, v11, v10
	v_add_co_ci_u32_e32 v10, vcc_lo, v12, v14, vcc_lo
	v_add_co_ci_u32_e32 v11, vcc_lo, 0, v15, vcc_lo
	v_add_co_u32 v8, vcc_lo, v10, v8
	v_add_co_ci_u32_e32 v10, vcc_lo, 0, v11, vcc_lo
	v_add_co_u32 v4, vcc_lo, v4, v8
	v_add_co_ci_u32_e32 v7, vcc_lo, v7, v10, vcc_lo
	v_mul_hi_u32 v8, s0, v4
	v_mul_lo_u32 v11, s20, v4
	v_mul_lo_u32 v10, s0, v7
	v_add_nc_u32_e32 v8, v8, v10
	v_mul_lo_u32 v10, s0, v4
	v_add_nc_u32_e32 v8, v8, v11
	v_mul_hi_u32 v11, v4, v10
	v_mul_lo_u32 v12, v4, v8
	v_mul_hi_u32 v13, v4, v8
	v_mul_hi_u32 v14, v7, v10
	v_mul_lo_u32 v10, v7, v10
	v_mul_hi_u32 v15, v7, v8
	v_mul_lo_u32 v8, v7, v8
	v_add_co_u32 v11, vcc_lo, v11, v12
	v_add_co_ci_u32_e32 v12, vcc_lo, 0, v13, vcc_lo
	v_add_co_u32 v10, vcc_lo, v11, v10
	v_add_co_ci_u32_e32 v10, vcc_lo, v12, v14, vcc_lo
	v_add_co_ci_u32_e32 v11, vcc_lo, 0, v15, vcc_lo
	v_add_co_u32 v8, vcc_lo, v10, v8
	v_add_co_ci_u32_e32 v10, vcc_lo, 0, v11, vcc_lo
	v_add_co_u32 v4, vcc_lo, v4, v8
	v_add_co_ci_u32_e32 v12, vcc_lo, v7, v10, vcc_lo
	v_mul_hi_u32 v14, v5, v4
	v_mad_u64_u32 v[10:11], null, v6, v4, 0
	v_mad_u64_u32 v[7:8], null, v5, v12, 0
	;; [unrolled: 1-line block ×3, first 2 shown]
	v_add_co_u32 v4, vcc_lo, v14, v7
	v_add_co_ci_u32_e32 v7, vcc_lo, 0, v8, vcc_lo
	v_add_co_u32 v4, vcc_lo, v4, v10
	v_add_co_ci_u32_e32 v4, vcc_lo, v7, v11, vcc_lo
	v_add_co_ci_u32_e32 v7, vcc_lo, 0, v13, vcc_lo
	v_add_co_u32 v4, vcc_lo, v4, v12
	v_add_co_ci_u32_e32 v10, vcc_lo, 0, v7, vcc_lo
	v_mul_lo_u32 v11, s19, v4
	v_mad_u64_u32 v[7:8], null, s18, v4, 0
	v_mul_lo_u32 v12, s18, v10
	v_sub_co_u32 v7, vcc_lo, v5, v7
	v_add3_u32 v8, v8, v12, v11
	v_sub_nc_u32_e32 v11, v6, v8
	v_subrev_co_ci_u32_e64 v11, s0, s19, v11, vcc_lo
	v_add_co_u32 v12, s0, v4, 2
	v_add_co_ci_u32_e64 v13, s0, 0, v10, s0
	v_sub_co_u32 v14, s0, v7, s18
	v_sub_co_ci_u32_e32 v8, vcc_lo, v6, v8, vcc_lo
	v_subrev_co_ci_u32_e64 v11, s0, 0, v11, s0
	v_cmp_le_u32_e32 vcc_lo, s18, v14
	v_cmp_eq_u32_e64 s0, s19, v8
	v_cndmask_b32_e64 v14, 0, -1, vcc_lo
	v_cmp_le_u32_e32 vcc_lo, s19, v11
	v_cndmask_b32_e64 v15, 0, -1, vcc_lo
	v_cmp_le_u32_e32 vcc_lo, s18, v7
	;; [unrolled: 2-line block ×3, first 2 shown]
	v_cndmask_b32_e64 v16, 0, -1, vcc_lo
	v_cmp_eq_u32_e32 vcc_lo, s19, v11
	v_cndmask_b32_e64 v7, v16, v7, s0
	v_cndmask_b32_e32 v11, v15, v14, vcc_lo
	v_add_co_u32 v14, vcc_lo, v4, 1
	v_add_co_ci_u32_e32 v15, vcc_lo, 0, v10, vcc_lo
	v_cmp_ne_u32_e32 vcc_lo, 0, v11
	v_cndmask_b32_e32 v8, v15, v13, vcc_lo
	v_cndmask_b32_e32 v11, v14, v12, vcc_lo
	v_cmp_ne_u32_e32 vcc_lo, 0, v7
	v_cndmask_b32_e32 v8, v10, v8, vcc_lo
	v_cndmask_b32_e32 v7, v4, v11, vcc_lo
.LBB0_4:                                ;   in Loop: Header=BB0_2 Depth=1
	s_andn2_saveexec_b32 s0, s1
	s_cbranch_execz .LBB0_6
; %bb.5:                                ;   in Loop: Header=BB0_2 Depth=1
	v_cvt_f32_u32_e32 v4, s18
	s_sub_i32 s1, 0, s18
	v_rcp_iflag_f32_e32 v4, v4
	v_mul_f32_e32 v4, 0x4f7ffffe, v4
	v_cvt_u32_f32_e32 v4, v4
	v_mul_lo_u32 v7, s1, v4
	v_mul_hi_u32 v7, v4, v7
	v_add_nc_u32_e32 v4, v4, v7
	v_mul_hi_u32 v4, v5, v4
	v_mul_lo_u32 v7, v4, s18
	v_add_nc_u32_e32 v8, 1, v4
	v_sub_nc_u32_e32 v7, v5, v7
	v_subrev_nc_u32_e32 v10, s18, v7
	v_cmp_le_u32_e32 vcc_lo, s18, v7
	v_cndmask_b32_e32 v7, v7, v10, vcc_lo
	v_cndmask_b32_e32 v4, v4, v8, vcc_lo
	v_cmp_le_u32_e32 vcc_lo, s18, v7
	v_add_nc_u32_e32 v8, 1, v4
	v_cndmask_b32_e32 v7, v4, v8, vcc_lo
	v_mov_b32_e32 v8, v3
.LBB0_6:                                ;   in Loop: Header=BB0_2 Depth=1
	s_or_b32 exec_lo, exec_lo, s0
	s_load_dwordx2 s[0:1], s[6:7], 0x0
	v_mul_lo_u32 v4, v8, s18
	v_mul_lo_u32 v12, v7, s19
	v_mad_u64_u32 v[10:11], null, v7, s18, 0
	s_add_u32 s16, s16, 1
	s_addc_u32 s17, s17, 0
	s_add_u32 s6, s6, 8
	s_addc_u32 s7, s7, 0
	;; [unrolled: 2-line block ×3, first 2 shown]
	v_add3_u32 v4, v11, v12, v4
	v_sub_co_u32 v5, vcc_lo, v5, v10
	v_sub_co_ci_u32_e32 v4, vcc_lo, v6, v4, vcc_lo
	s_waitcnt lgkmcnt(0)
	v_mul_lo_u32 v6, s1, v5
	v_mul_lo_u32 v4, s0, v4
	v_mad_u64_u32 v[1:2], null, s0, v5, v[1:2]
	v_cmp_ge_u64_e64 s0, s[16:17], s[10:11]
	s_and_b32 vcc_lo, exec_lo, s0
	v_add3_u32 v2, v6, v2, v4
	s_cbranch_vccnz .LBB0_9
; %bb.7:                                ;   in Loop: Header=BB0_2 Depth=1
	v_mov_b32_e32 v5, v7
	v_mov_b32_e32 v6, v8
	s_branch .LBB0_2
.LBB0_8:
	v_mov_b32_e32 v8, v6
	v_mov_b32_e32 v7, v5
.LBB0_9:
	s_lshl_b64 s[0:1], s[10:11], 3
	v_and_b32_e32 v6, 1, v9
	s_add_u32 s0, s12, s0
	s_addc_u32 s1, s13, s1
	v_mul_hi_u32 v3, 0x2e8ba2f, v0
	s_load_dwordx2 s[0:1], s[0:1], 0x0
	s_load_dwordx2 s[4:5], s[4:5], 0x20
	v_cmp_eq_u32_e32 vcc_lo, 1, v6
	v_mul_u32_u24_e32 v3, 0x58, v3
	v_sub_nc_u32_e32 v16, v0, v3
	s_waitcnt lgkmcnt(0)
	v_mul_lo_u32 v4, s0, v8
	v_mul_lo_u32 v5, s1, v7
	v_mad_u64_u32 v[1:2], null, s0, v7, v[1:2]
	v_add3_u32 v2, v5, v2, v4
	v_cndmask_b32_e64 v4, 0, 0x3c9, vcc_lo
	v_cmp_gt_u64_e32 vcc_lo, s[4:5], v[7:8]
	v_lshlrev_b64 v[18:19], 3, v[1:2]
	v_lshlrev_b32_e32 v33, 3, v4
	s_and_saveexec_b32 s1, vcc_lo
	s_cbranch_execz .LBB0_13
; %bb.10:
	v_mov_b32_e32 v17, 0
	v_add_co_u32 v0, s0, s2, v18
	v_add_co_ci_u32_e64 v1, s0, s3, v19, s0
	v_lshlrev_b64 v[2:3], 3, v[16:17]
	s_mov_b32 s4, exec_lo
	v_add_co_u32 v2, s0, v0, v2
	v_add_co_ci_u32_e64 v3, s0, v1, v3, s0
	v_add_co_u32 v5, s0, 0x800, v2
	v_add_co_ci_u32_e64 v6, s0, 0, v3, s0
	;; [unrolled: 2-line block ×3, first 2 shown]
	s_clause 0x3
	global_load_dwordx2 v[9:10], v[2:3], off
	global_load_dwordx2 v[11:12], v[2:3], off offset:704
	global_load_dwordx2 v[13:14], v[2:3], off offset:1408
	;; [unrolled: 1-line block ×3, first 2 shown]
	v_add_co_u32 v2, s0, 0x1800, v2
	v_add_co_ci_u32_e64 v3, s0, 0, v3, s0
	s_clause 0x6
	global_load_dwordx2 v[22:23], v[5:6], off offset:768
	global_load_dwordx2 v[5:6], v[5:6], off offset:1472
	;; [unrolled: 1-line block ×7, first 2 shown]
	v_lshlrev_b32_e32 v2, 3, v16
	v_add3_u32 v2, 0, v33, v2
	v_add_nc_u32_e32 v3, 0x400, v2
	v_add_nc_u32_e32 v15, 0x800, v2
	;; [unrolled: 1-line block ×4, first 2 shown]
	s_waitcnt vmcnt(9)
	ds_write2_b64 v2, v[9:10], v[11:12] offset1:88
	s_waitcnt vmcnt(7)
	ds_write2_b64 v3, v[13:14], v[20:21] offset0:48 offset1:136
	s_waitcnt vmcnt(5)
	ds_write2_b64 v15, v[22:23], v[5:6] offset0:96 offset1:184
	;; [unrolled: 2-line block ×4, first 2 shown]
	s_waitcnt vmcnt(0)
	ds_write_b64 v2, v[30:31] offset:7040
	v_cmpx_eq_u32_e32 0x57, v16
	s_cbranch_execz .LBB0_12
; %bb.11:
	v_add_co_u32 v0, s0, 0x1800, v0
	v_add_co_ci_u32_e64 v1, s0, 0, v1, s0
	v_mov_b32_e32 v16, 0x57
	global_load_dwordx2 v[0:1], v[0:1], off offset:1600
	s_waitcnt vmcnt(0)
	ds_write_b64 v2, v[0:1] offset:7048
.LBB0_12:
	s_or_b32 exec_lo, exec_lo, s4
.LBB0_13:
	s_or_b32 exec_lo, exec_lo, s1
	v_lshl_add_u32 v30, v4, 3, 0
	v_lshlrev_b32_e32 v5, 3, v16
	s_waitcnt lgkmcnt(0)
	s_barrier
	buffer_gl0_inv
	s_add_u32 s1, s8, 0x1e30
	v_add_nc_u32_e32 v31, v30, v5
	v_sub_nc_u32_e32 v6, v30, v5
	s_addc_u32 s4, s9, 0
	s_mov_b32 s5, exec_lo
	ds_read_b32 v7, v31
	ds_read_b32 v8, v6 offset:7744
                                        ; implicit-def: $vgpr2_vgpr3
	s_waitcnt lgkmcnt(0)
	v_add_f32_e32 v0, v8, v7
	v_sub_f32_e32 v1, v7, v8
	v_cmpx_ne_u32_e32 0, v16
	s_xor_b32 s5, exec_lo, s5
	s_cbranch_execz .LBB0_15
; %bb.14:
	v_mov_b32_e32 v17, 0
	v_add_f32_e32 v9, v8, v7
	v_sub_f32_e32 v10, v7, v8
	v_lshlrev_b64 v[0:1], 3, v[16:17]
	v_add_co_u32 v0, s0, s1, v0
	v_add_co_ci_u32_e64 v1, s0, s4, v1, s0
	global_load_dwordx2 v[2:3], v[0:1], off
	ds_read_b32 v0, v6 offset:7748
	ds_read_b32 v1, v31 offset:4
	s_waitcnt lgkmcnt(0)
	v_add_f32_e32 v11, v0, v1
	v_sub_f32_e32 v0, v1, v0
	s_waitcnt vmcnt(0)
	v_fma_f32 v7, -v10, v3, v9
	v_fma_f32 v8, v11, v3, -v0
	v_fma_f32 v12, v10, v3, v9
	v_fma_f32 v1, v11, v3, v0
	v_fmac_f32_e32 v7, v2, v11
	v_fmac_f32_e32 v8, v10, v2
	v_fma_f32 v0, -v2, v11, v12
	v_fmac_f32_e32 v1, v10, v2
	v_mov_b32_e32 v2, v16
	v_mov_b32_e32 v3, v17
	ds_write_b64 v6, v[7:8] offset:7744
.LBB0_15:
	s_andn2_saveexec_b32 s0, s5
	s_cbranch_execz .LBB0_17
; %bb.16:
	ds_read_b64 v[2:3], v30 offset:3872
	s_waitcnt lgkmcnt(0)
	v_add_f32_e32 v7, v2, v2
	v_mul_f32_e32 v8, -2.0, v3
	v_mov_b32_e32 v2, 0
	v_mov_b32_e32 v3, 0
	ds_write_b64 v30, v[7:8] offset:3872
.LBB0_17:
	s_or_b32 exec_lo, exec_lo, s0
	v_lshlrev_b64 v[2:3], 3, v[2:3]
	v_add_co_u32 v2, s0, s1, v2
	v_add_co_ci_u32_e64 v3, s0, s4, v3, s0
	s_clause 0x1
	global_load_dwordx2 v[7:8], v[2:3], off offset:704
	global_load_dwordx2 v[9:10], v[2:3], off offset:1408
	v_add_co_u32 v2, s0, 0x800, v2
	v_add_co_ci_u32_e64 v3, s0, 0, v3, s0
	v_cmp_gt_u32_e64 s0, 44, v16
	s_clause 0x1
	global_load_dwordx2 v[11:12], v[2:3], off offset:64
	global_load_dwordx2 v[13:14], v[2:3], off offset:768
	ds_write_b64 v31, v[0:1]
	ds_read_b64 v[0:1], v31 offset:704
	ds_read_b64 v[20:21], v6 offset:7040
	s_waitcnt lgkmcnt(0)
	v_add_f32_e32 v15, v0, v20
	v_add_f32_e32 v17, v21, v1
	v_sub_f32_e32 v22, v0, v20
	v_sub_f32_e32 v0, v1, v21
	s_waitcnt vmcnt(3)
	v_fma_f32 v23, v22, v8, v15
	v_fma_f32 v1, v17, v8, v0
	v_fma_f32 v20, -v22, v8, v15
	v_fma_f32 v21, v17, v8, -v0
	v_fma_f32 v0, -v7, v17, v23
	v_fmac_f32_e32 v1, v22, v7
	v_fmac_f32_e32 v20, v7, v17
	v_fmac_f32_e32 v21, v22, v7
	ds_write_b64 v31, v[0:1] offset:704
	ds_write_b64 v6, v[20:21] offset:7040
	ds_read_b64 v[0:1], v31 offset:1408
	ds_read_b64 v[7:8], v6 offset:6336
	s_waitcnt lgkmcnt(0)
	v_add_f32_e32 v15, v0, v7
	v_add_f32_e32 v17, v8, v1
	v_sub_f32_e32 v20, v0, v7
	v_sub_f32_e32 v0, v1, v8
	s_waitcnt vmcnt(2)
	v_fma_f32 v21, v20, v10, v15
	v_fma_f32 v1, v17, v10, v0
	v_fma_f32 v7, -v20, v10, v15
	v_fma_f32 v8, v17, v10, -v0
	v_fma_f32 v0, -v9, v17, v21
	v_fmac_f32_e32 v1, v20, v9
	v_fmac_f32_e32 v7, v9, v17
	v_fmac_f32_e32 v8, v20, v9
	ds_write_b64 v31, v[0:1] offset:1408
	ds_write_b64 v6, v[7:8] offset:6336
	;; [unrolled: 18-line block ×4, first 2 shown]
	s_and_saveexec_b32 s1, s0
	s_cbranch_execz .LBB0_19
; %bb.18:
	global_load_dwordx2 v[0:1], v[2:3], off offset:1472
	ds_read_b64 v[2:3], v31 offset:3520
	ds_read_b64 v[7:8], v6 offset:4224
	s_waitcnt lgkmcnt(0)
	v_add_f32_e32 v9, v2, v7
	v_add_f32_e32 v10, v8, v3
	v_sub_f32_e32 v11, v2, v7
	v_sub_f32_e32 v3, v3, v8
	s_waitcnt vmcnt(0)
	v_fma_f32 v12, v11, v1, v9
	v_fma_f32 v2, v10, v1, v3
	v_fma_f32 v7, -v11, v1, v9
	v_fma_f32 v8, v10, v1, -v3
	v_fma_f32 v1, -v0, v10, v12
	v_fmac_f32_e32 v2, v11, v0
	v_fmac_f32_e32 v7, v0, v10
	;; [unrolled: 1-line block ×3, first 2 shown]
	ds_write_b64 v31, v[1:2] offset:3520
	ds_write_b64 v6, v[7:8] offset:4224
.LBB0_19:
	s_or_b32 exec_lo, exec_lo, s1
	v_add_nc_u32_e32 v32, 0, v5
	s_waitcnt lgkmcnt(0)
	s_barrier
	buffer_gl0_inv
	v_add_nc_u32_e32 v17, v32, v33
	s_barrier
	buffer_gl0_inv
	v_add_nc_u32_e32 v29, 0x58, v16
	v_add_nc_u32_e32 v34, 0xb0, v16
	v_add_nc_u32_e32 v3, 0x800, v17
	v_add_nc_u32_e32 v0, 0x1000, v17
	v_add_nc_u32_e32 v14, 0x1400, v17
	v_add_nc_u32_e32 v35, 0x108, v16
	ds_read2_b64 v[6:9], v17 offset0:88 offset1:176
	ds_read2_b64 v[10:13], v3 offset0:184 offset1:228
	ds_read_b64 v[1:2], v31
	ds_read2_b64 v[20:23], v0 offset0:60 offset1:148
	ds_read2_b64 v[24:27], v3 offset0:8 offset1:96
	;; [unrolled: 1-line block ×3, first 2 shown]
	ds_read_b64 v[14:15], v17 offset:7392
	v_add_nc_u32_e32 v38, 0x160, v16
	v_add_nc_u32_e32 v28, 0x1b8, v16
	s_waitcnt lgkmcnt(0)
	s_barrier
	buffer_gl0_inv
	v_sub_f32_e32 v43, v8, v22
	v_sub_f32_e32 v12, v1, v12
	;; [unrolled: 1-line block ×11, first 2 shown]
	v_fma_f32 v45, v1, 2.0, -v12
	v_add_nc_u32_e32 v1, v32, v5
	v_fma_f32 v20, v10, 2.0, -v22
	v_lshlrev_b32_e32 v10, 4, v29
	v_fma_f32 v21, v11, 2.0, -v23
	v_lshlrev_b32_e32 v11, 4, v34
	v_fma_f32 v46, v2, 2.0, -v13
	v_fma_f32 v2, v6, 2.0, -v36
	;; [unrolled: 1-line block ×4, first 2 shown]
	v_lshlrev_b32_e32 v24, 4, v35
	v_sub_f32_e32 v42, v27, v42
	v_fma_f32 v3, v7, 2.0, -v37
	v_fma_f32 v7, v9, 2.0, -v44
	v_fma_f32 v9, v25, 2.0, -v40
	v_lshlrev_b32_e32 v25, 4, v38
	v_fma_f32 v14, v26, 2.0, -v41
	v_add_nc_u32_e32 v26, v1, v33
	v_add3_u32 v10, 0, v10, v33
	v_add3_u32 v11, 0, v11, v33
	;; [unrolled: 1-line block ×3, first 2 shown]
	v_fma_f32 v15, v27, 2.0, -v42
	v_add3_u32 v25, 0, v25, v33
	ds_write2_b64 v26, v[45:46], v[12:13] offset1:1
	ds_write2_b64 v10, v[2:3], v[36:37] offset1:1
	;; [unrolled: 1-line block ×5, first 2 shown]
	s_and_saveexec_b32 s1, s0
	s_cbranch_execz .LBB0_21
; %bb.20:
	v_lshlrev_b32_e32 v2, 4, v28
	v_add3_u32 v2, 0, v2, v33
	ds_write2_b64 v2, v[20:21], v[22:23] offset1:1
.LBB0_21:
	s_or_b32 exec_lo, exec_lo, s1
	v_sub_nc_u32_e32 v1, v1, v5
	s_waitcnt lgkmcnt(0)
	s_barrier
	buffer_gl0_inv
	v_lshlrev_b32_e32 v37, 1, v29
	v_lshl_add_u32 v32, v4, 3, v1
	v_add_nc_u32_e32 v1, 0xc00, v17
	v_lshlrev_b32_e32 v36, 1, v34
	v_lshlrev_b32_e32 v35, 1, v35
	;; [unrolled: 1-line block ×3, first 2 shown]
	v_add_nc_u32_e32 v2, 0x800, v32
	ds_read2_b64 v[8:11], v0 offset0:148 offset1:236
	ds_read2_b64 v[12:15], v1 offset0:100 offset1:188
	;; [unrolled: 1-line block ×4, first 2 shown]
	ds_read_b64 v[24:25], v31
	ds_read_b64 v[26:27], v17 offset:6688
	s_and_saveexec_b32 s1, s0
	s_cbranch_execz .LBB0_23
; %bb.22:
	ds_read_b64 v[20:21], v32 offset:3520
	ds_read_b64 v[22:23], v17 offset:7392
.LBB0_23:
	s_or_b32 exec_lo, exec_lo, s1
	v_and_b32_e32 v29, 1, v16
	v_lshlrev_b32_e32 v39, 1, v16
	v_lshlrev_b32_e32 v38, 3, v29
	v_and_or_b32 v42, 0x1fc, v37, v29
	v_and_or_b32 v43, 0x3fc, v36, v29
	;; [unrolled: 1-line block ×4, first 2 shown]
	global_load_dwordx2 v[40:41], v38, s[8:9]
	v_lshlrev_b32_e32 v38, 1, v28
	v_and_or_b32 v28, 0xfc, v39, v29
	v_lshlrev_b32_e32 v42, 3, v42
	v_lshlrev_b32_e32 v43, 3, v43
	;; [unrolled: 1-line block ×5, first 2 shown]
	v_add3_u32 v42, 0, v42, v33
	v_add3_u32 v43, 0, v43, v33
	;; [unrolled: 1-line block ×5, first 2 shown]
	s_waitcnt vmcnt(0) lgkmcnt(0)
	s_barrier
	buffer_gl0_inv
	v_mul_f32_e32 v46, v41, v13
	v_mul_f32_e32 v47, v41, v12
	;; [unrolled: 1-line block ×12, first 2 shown]
	v_fma_f32 v12, v40, v12, -v46
	v_fmac_f32_e32 v47, v40, v13
	v_fma_f32 v13, v40, v14, -v48
	v_fma_f32 v22, v22, v40, -v56
	v_fmac_f32_e32 v41, v23, v40
	v_fmac_f32_e32 v49, v40, v15
	v_fma_f32 v14, v40, v8, -v50
	v_fmac_f32_e32 v51, v40, v9
	v_fma_f32 v15, v40, v10, -v52
	v_fmac_f32_e32 v53, v40, v11
	v_fma_f32 v26, v40, v26, -v54
	v_fmac_f32_e32 v55, v40, v27
	v_sub_f32_e32 v8, v24, v12
	v_sub_f32_e32 v9, v25, v47
	;; [unrolled: 1-line block ×12, first 2 shown]
	v_fma_f32 v24, v24, 2.0, -v8
	v_fma_f32 v25, v25, 2.0, -v9
	;; [unrolled: 1-line block ×12, first 2 shown]
	ds_write2_b64 v28, v[24:25], v[8:9] offset1:2
	ds_write2_b64 v42, v[4:5], v[10:11] offset1:2
	;; [unrolled: 1-line block ×5, first 2 shown]
	s_and_saveexec_b32 s1, s0
	s_cbranch_execz .LBB0_25
; %bb.24:
	v_and_or_b32 v0, 0x3fc, v38, v29
	v_lshlrev_b32_e32 v0, 3, v0
	v_add3_u32 v0, 0, v0, v33
	ds_write2_b64 v0, v[20:21], v[22:23] offset1:2
.LBB0_25:
	s_or_b32 exec_lo, exec_lo, s1
	v_add_nc_u32_e32 v0, 0xc00, v17
	v_add_nc_u32_e32 v1, 0x1000, v17
	;; [unrolled: 1-line block ×3, first 2 shown]
	s_waitcnt lgkmcnt(0)
	s_barrier
	buffer_gl0_inv
	ds_read2_b64 v[12:15], v0 offset0:100 offset1:188
	ds_read2_b64 v[4:7], v32 offset0:88 offset1:176
	;; [unrolled: 1-line block ×4, first 2 shown]
	ds_read_b64 v[24:25], v31
	ds_read_b64 v[28:29], v17 offset:6688
	s_and_saveexec_b32 s1, s0
	s_cbranch_execz .LBB0_27
; %bb.26:
	ds_read_b64 v[20:21], v17 offset:3520
	ds_read_b64 v[22:23], v17 offset:7392
.LBB0_27:
	s_or_b32 exec_lo, exec_lo, s1
	v_and_b32_e32 v40, 3, v16
	v_lshlrev_b32_e32 v26, 3, v40
	v_and_or_b32 v39, 0xf8, v39, v40
	v_and_or_b32 v37, 0x1f8, v37, v40
	;; [unrolled: 1-line block ×4, first 2 shown]
	global_load_dwordx2 v[26:27], v26, s[8:9] offset:16
	v_and_or_b32 v34, 0x3f8, v34, v40
	v_lshlrev_b32_e32 v39, 3, v39
	v_lshlrev_b32_e32 v37, 3, v37
	;; [unrolled: 1-line block ×5, first 2 shown]
	v_add3_u32 v39, 0, v39, v33
	v_add3_u32 v37, 0, v37, v33
	;; [unrolled: 1-line block ×5, first 2 shown]
	s_waitcnt vmcnt(0) lgkmcnt(0)
	s_barrier
	buffer_gl0_inv
	v_mul_f32_e32 v41, v27, v13
	v_mul_f32_e32 v42, v27, v12
	;; [unrolled: 1-line block ×10, first 2 shown]
	v_fma_f32 v12, v26, v12, -v41
	v_fmac_f32_e32 v42, v26, v13
	v_fma_f32 v13, v26, v14, -v43
	v_fmac_f32_e32 v44, v26, v15
	;; [unrolled: 2-line block ×5, first 2 shown]
	v_sub_f32_e32 v8, v24, v12
	v_sub_f32_e32 v9, v25, v42
	;; [unrolled: 1-line block ×10, first 2 shown]
	v_fma_f32 v24, v24, 2.0, -v8
	v_fma_f32 v25, v25, 2.0, -v9
	;; [unrolled: 1-line block ×10, first 2 shown]
	ds_write2_b64 v39, v[24:25], v[8:9] offset1:4
	ds_write2_b64 v37, v[4:5], v[10:11] offset1:4
	;; [unrolled: 1-line block ×5, first 2 shown]
	s_and_saveexec_b32 s1, s0
	s_cbranch_execz .LBB0_29
; %bb.28:
	v_mul_f32_e32 v0, v22, v27
	v_mul_f32_e32 v1, v23, v27
	v_and_or_b32 v3, 0x3f8, v38, v40
	v_fmac_f32_e32 v0, v23, v26
	v_fma_f32 v2, v22, v26, -v1
	v_lshlrev_b32_e32 v4, 3, v3
	v_sub_f32_e32 v1, v21, v0
	v_sub_f32_e32 v0, v20, v2
	v_add3_u32 v4, 0, v4, v33
	v_fma_f32 v3, v21, 2.0, -v1
	v_fma_f32 v2, v20, 2.0, -v0
	ds_write2_b64 v4, v[2:3], v[0:1] offset1:4
.LBB0_29:
	s_or_b32 exec_lo, exec_lo, s1
	v_and_b32_e32 v0, 7, v16
	s_waitcnt lgkmcnt(0)
	s_barrier
	buffer_gl0_inv
	v_add_nc_u32_e32 v4, 0x800, v32
	v_mul_u32_u24_e32 v1, 10, v0
	v_add_nc_u32_e32 v5, 0xc00, v17
	v_add_nc_u32_e32 v3, 0x1000, v17
	;; [unrolled: 1-line block ×3, first 2 shown]
	v_lshlrev_b32_e32 v1, 3, v1
	s_clause 0x4
	global_load_dwordx4 v[11:14], v1, s[8:9] offset:48
	global_load_dwordx4 v[21:24], v1, s[8:9] offset:64
	;; [unrolled: 1-line block ×5, first 2 shown]
	v_lshrrev_b32_e32 v1, 3, v16
	ds_read2_b64 v[42:45], v32 offset0:88 offset1:176
	ds_read2_b64 v[46:49], v4 offset0:8 offset1:96
	ds_read2_b32 v[58:59], v5 offset0:112 offset1:113
	ds_read2_b64 v[50:53], v3 offset0:16 offset1:104
	ds_read2_b64 v[54:57], v2 offset0:64 offset1:152
	v_mul_u32_u24_e32 v1, 0x58, v1
	v_or_b32_e32 v0, v1, v0
	v_lshlrev_b32_e32 v6, 3, v0
	ds_read_b64 v[0:1], v31
	ds_read_b64 v[60:61], v17 offset:7040
	s_waitcnt vmcnt(0) lgkmcnt(0)
	s_barrier
	buffer_gl0_inv
	v_add3_u32 v6, 0, v6, v33
	v_mul_f32_e32 v10, v12, v43
	v_mul_f32_e32 v29, v12, v42
	;; [unrolled: 1-line block ×20, first 2 shown]
	v_fma_f32 v41, v11, v42, -v10
	v_fmac_f32_e32 v29, v11, v43
	v_fma_f32 v42, v13, v44, -v15
	v_fmac_f32_e32 v33, v13, v45
	;; [unrolled: 2-line block ×5, first 2 shown]
	v_add_f32_e32 v24, v41, v0
	v_add_f32_e32 v25, v29, v1
	v_fma_f32 v43, v21, v46, -v62
	v_fmac_f32_e32 v63, v21, v47
	v_fma_f32 v21, v50, v27, -v26
	v_fmac_f32_e32 v14, v51, v27
	;; [unrolled: 2-line block ×5, first 2 shown]
	v_sub_f32_e32 v27, v29, v7
	v_sub_f32_e32 v28, v41, v10
	v_add_f32_e32 v24, v24, v42
	v_add_f32_e32 v25, v25, v33
	;; [unrolled: 1-line block ×4, first 2 shown]
	v_sub_f32_e32 v35, v33, v8
	v_sub_f32_e32 v36, v42, v11
	;; [unrolled: 1-line block ×7, first 2 shown]
	v_mul_f32_e32 v53, 0xbf0a6770, v27
	v_mul_f32_e32 v54, 0xbf0a6770, v28
	;; [unrolled: 1-line block ×9, first 2 shown]
	v_add_f32_e32 v24, v24, v43
	v_add_f32_e32 v25, v25, v63
	v_mul_f32_e32 v28, 0xbe903f40, v28
	v_add_f32_e32 v34, v42, v11
	v_add_f32_e32 v37, v33, v8
	;; [unrolled: 1-line block ×7, first 2 shown]
	v_sub_f32_e32 v51, v23, v21
	v_mul_f32_e32 v61, 0xbf68dda4, v35
	v_mul_f32_e32 v62, 0xbf4178ce, v35
	;; [unrolled: 1-line block ×35, first 2 shown]
	v_fma_f32 v91, 0x3f575c64, v26, -v53
	v_fmamk_f32 v92, v29, 0x3f575c64, v54
	v_fmac_f32_e32 v53, 0x3f575c64, v26
	v_fma_f32 v54, 0x3f575c64, v29, -v54
	v_fma_f32 v93, 0x3ed4b147, v26, -v55
	v_fmamk_f32 v94, v29, 0x3ed4b147, v56
	v_fmac_f32_e32 v55, 0x3ed4b147, v26
	v_fma_f32 v56, 0x3ed4b147, v29, -v56
	;; [unrolled: 4-line block ×4, first 2 shown]
	v_fmac_f32_e32 v27, 0xbf75a155, v26
	v_add_f32_e32 v24, v24, v44
	v_add_f32_e32 v22, v25, v22
	v_fmamk_f32 v100, v29, 0xbf75a155, v28
	v_fma_f32 v60, 0xbf27a4f4, v29, -v60
	v_fma_f32 v26, 0xbf75a155, v29, -v28
	v_add_f32_e32 v52, v20, v14
	v_mul_f32_e32 v88, 0xbe903f40, v51
	v_mul_f32_e32 v89, 0x3f0a6770, v51
	;; [unrolled: 1-line block ×3, first 2 shown]
	v_fma_f32 v28, 0x3ed4b147, v34, -v61
	v_fmac_f32_e32 v61, 0x3ed4b147, v34
	v_fma_f32 v29, 0xbf27a4f4, v34, -v62
	v_fmac_f32_e32 v62, 0xbf27a4f4, v34
	v_fma_f32 v101, 0xbf75a155, v34, -v64
	v_fmac_f32_e32 v64, 0xbf75a155, v34
	v_fma_f32 v102, 0xbe11bafb, v34, -v65
	v_fmac_f32_e32 v65, 0xbe11bafb, v34
	v_fma_f32 v103, 0x3f575c64, v34, -v35
	v_fmac_f32_e32 v35, 0x3f575c64, v34
	v_fmamk_f32 v34, v37, 0x3ed4b147, v33
	v_fma_f32 v33, 0x3ed4b147, v37, -v33
	v_fmamk_f32 v104, v37, 0xbf27a4f4, v42
	v_fma_f32 v42, 0xbf27a4f4, v37, -v42
	v_fmamk_f32 v105, v37, 0xbf75a155, v66
	v_fma_f32 v66, 0xbf75a155, v37, -v66
	v_fmamk_f32 v106, v37, 0xbe11bafb, v67
	v_fma_f32 v67, 0xbe11bafb, v37, -v67
	v_fmamk_f32 v107, v37, 0x3f575c64, v36
	v_fma_f32 v36, 0x3f575c64, v37, -v36
	v_fma_f32 v37, 0xbe11bafb, v39, -v68
	v_fmac_f32_e32 v68, 0xbe11bafb, v39
	v_fma_f32 v108, 0xbf75a155, v39, -v69
	v_fmac_f32_e32 v69, 0xbf75a155, v39
	v_fma_f32 v109, 0x3ed4b147, v39, -v70
	v_fmac_f32_e32 v70, 0x3ed4b147, v39
	v_fma_f32 v110, 0x3f575c64, v39, -v71
	v_fmac_f32_e32 v71, 0x3f575c64, v39
	v_fma_f32 v111, 0xbf27a4f4, v39, -v38
	v_fmac_f32_e32 v38, 0xbf27a4f4, v39
	v_fmamk_f32 v39, v41, 0xbe11bafb, v72
	v_fma_f32 v43, 0xbe11bafb, v41, -v72
	v_fmamk_f32 v63, v41, 0xbf75a155, v73
	v_fma_f32 v72, 0xbf75a155, v41, -v73
	v_fmamk_f32 v73, v41, 0x3ed4b147, v74
	v_fma_f32 v74, 0x3ed4b147, v41, -v74
	v_fmamk_f32 v112, v41, 0x3f575c64, v75
	v_fma_f32 v75, 0x3f575c64, v41, -v75
	v_fmamk_f32 v113, v41, 0xbf27a4f4, v40
	v_fma_f32 v40, 0xbf27a4f4, v41, -v40
	;; [unrolled: 20-line block ×3, first 2 shown]
	v_fma_f32 v48, 0xbf75a155, v50, -v84
	v_fmac_f32_e32 v84, 0xbf75a155, v50
	v_fma_f32 v122, 0x3f575c64, v50, -v85
	v_fmac_f32_e32 v85, 0x3f575c64, v50
	;; [unrolled: 2-line block ×5, first 2 shown]
	v_mul_f32_e32 v50, 0x3f68dda4, v51
	v_mul_f32_e32 v51, 0xbf7d64f0, v51
	v_add_f32_e32 v91, v91, v0
	v_add_f32_e32 v92, v92, v1
	;; [unrolled: 1-line block ×18, first 2 shown]
	v_mul_u32_u24_e32 v24, 10, v16
	v_add_f32_e32 v20, v22, v20
	v_add_f32_e32 v100, v100, v1
	;; [unrolled: 1-line block ×4, first 2 shown]
	v_fmamk_f32 v26, v52, 0xbf75a155, v88
	v_fma_f32 v27, 0xbf75a155, v52, -v88
	v_fmamk_f32 v88, v52, 0x3f575c64, v89
	v_fma_f32 v89, 0x3f575c64, v52, -v89
	;; [unrolled: 2-line block ×5, first 2 shown]
	v_lshlrev_b32_e32 v52, 3, v24
	v_add_f32_e32 v22, v28, v91
	v_add_f32_e32 v24, v34, v92
	;; [unrolled: 1-line block ×90, first 2 shown]
	ds_write2_b64 v6, v[14:15], v[22:23] offset0:16 offset1:24
	ds_write2_b64 v6, v[26:27], v[33:34] offset0:32 offset1:40
	;; [unrolled: 1-line block ×4, first 2 shown]
	ds_write_b64 v6, v[12:13] offset:640
	ds_write2_b64 v6, v[10:11], v[0:1] offset1:8
	s_waitcnt lgkmcnt(0)
	s_barrier
	buffer_gl0_inv
	s_clause 0x4
	global_load_dwordx4 v[8:11], v52, s[8:9] offset:688
	global_load_dwordx4 v[33:36], v52, s[8:9] offset:704
	;; [unrolled: 1-line block ×5, first 2 shown]
	ds_read2_b64 v[49:52], v32 offset0:88 offset1:176
	ds_read2_b64 v[53:56], v4 offset0:8 offset1:96
	;; [unrolled: 1-line block ×3, first 2 shown]
	v_add_nc_u32_e32 v0, 0x1800, v17
	ds_read2_b64 v[61:64], v3 offset0:104 offset1:192
	ds_read2_b64 v[65:68], v0 offset0:24 offset1:112
	ds_read_b64 v[0:1], v31
	v_add_nc_u32_e32 v126, 0x800, v17
	s_waitcnt vmcnt(0) lgkmcnt(0)
	s_barrier
	buffer_gl0_inv
	v_mul_f32_e32 v7, v9, v50
	v_mul_f32_e32 v28, v9, v49
	;; [unrolled: 1-line block ×13, first 2 shown]
	v_fma_f32 v36, v8, v49, -v7
	v_fmac_f32_e32 v28, v8, v50
	v_mul_f32_e32 v24, v38, v58
	v_mul_f32_e32 v25, v60, v40
	;; [unrolled: 1-line block ×4, first 2 shown]
	v_fma_f32 v27, v10, v51, -v12
	v_fmac_f32_e32 v26, v10, v52
	v_fma_f32 v10, v63, v43, -v31
	v_fma_f32 v8, v65, v45, -v32
	;; [unrolled: 1-line block ×3, first 2 shown]
	v_fmac_f32_e32 v5, v68, v47
	v_fmac_f32_e32 v4, v66, v45
	v_add_f32_e32 v31, v36, v0
	v_add_f32_e32 v32, v28, v1
	v_mul_f32_e32 v13, v38, v57
	v_mul_f32_e32 v11, v59, v40
	;; [unrolled: 1-line block ×3, first 2 shown]
	v_fma_f32 v23, v33, v53, -v15
	v_fmac_f32_e32 v22, v33, v54
	v_fma_f32 v21, v35, v55, -v20
	v_fmac_f32_e32 v14, v35, v56
	v_fma_f32 v20, v37, v57, -v24
	v_fma_f32 v15, v59, v39, -v25
	;; [unrolled: 1-line block ×3, first 2 shown]
	v_fmac_f32_e32 v6, v64, v43
	v_add_f32_e32 v24, v36, v7
	v_add_f32_e32 v25, v28, v5
	v_sub_f32_e32 v33, v36, v7
	v_sub_f32_e32 v34, v28, v5
	v_add_f32_e32 v29, v27, v8
	v_add_f32_e32 v28, v26, v4
	v_sub_f32_e32 v35, v27, v8
	v_sub_f32_e32 v36, v26, v4
	v_add_f32_e32 v27, v31, v27
	v_add_f32_e32 v26, v32, v26
	v_fmac_f32_e32 v13, v37, v58
	v_fmac_f32_e32 v11, v60, v39
	;; [unrolled: 1-line block ×3, first 2 shown]
	v_sub_f32_e32 v37, v22, v6
	v_add_f32_e32 v38, v23, v10
	v_sub_f32_e32 v39, v23, v10
	v_add_f32_e32 v40, v22, v6
	v_add_f32_e32 v23, v27, v23
	;; [unrolled: 1-line block ×3, first 2 shown]
	v_mul_f32_e32 v31, 0xbf0a6770, v34
	v_mul_f32_e32 v32, 0xbf0a6770, v33
	;; [unrolled: 1-line block ×10, first 2 shown]
	v_sub_f32_e32 v41, v14, v9
	v_add_f32_e32 v42, v21, v12
	v_sub_f32_e32 v43, v21, v12
	v_add_f32_e32 v44, v14, v9
	v_add_f32_e32 v21, v23, v21
	;; [unrolled: 1-line block ×3, first 2 shown]
	v_mul_f32_e32 v55, 0xbf68dda4, v36
	v_mul_f32_e32 v56, 0xbf68dda4, v35
	;; [unrolled: 1-line block ×10, first 2 shown]
	v_fma_f32 v87, 0x3f575c64, v24, -v31
	v_fmamk_f32 v88, v25, 0x3f575c64, v32
	v_fmac_f32_e32 v31, 0x3f575c64, v24
	v_fma_f32 v32, 0x3f575c64, v25, -v32
	v_fma_f32 v89, 0x3ed4b147, v24, -v49
	v_fmamk_f32 v90, v25, 0x3ed4b147, v50
	v_fmac_f32_e32 v49, 0x3ed4b147, v24
	v_fma_f32 v50, 0x3ed4b147, v25, -v50
	v_fma_f32 v91, 0xbe11bafb, v24, -v51
	v_fmamk_f32 v92, v25, 0xbe11bafb, v52
	v_fmac_f32_e32 v51, 0xbe11bafb, v24
	v_fma_f32 v52, 0xbe11bafb, v25, -v52
	v_fma_f32 v93, 0xbf27a4f4, v24, -v53
	v_fmamk_f32 v94, v25, 0xbf27a4f4, v54
	v_fmac_f32_e32 v53, 0xbf27a4f4, v24
	v_fma_f32 v54, 0xbf27a4f4, v25, -v54
	v_fma_f32 v95, 0xbf75a155, v24, -v34
	v_fmamk_f32 v96, v25, 0xbf75a155, v33
	v_fmac_f32_e32 v34, 0xbf75a155, v24
	v_fma_f32 v24, 0xbf75a155, v25, -v33
	v_sub_f32_e32 v45, v13, v11
	v_add_f32_e32 v46, v20, v15
	v_sub_f32_e32 v47, v20, v15
	v_add_f32_e32 v48, v13, v11
	v_add_f32_e32 v20, v21, v20
	v_add_f32_e32 v13, v14, v13
	v_mul_f32_e32 v63, 0xbf7d64f0, v37
	v_mul_f32_e32 v64, 0x3e903f40, v37
	v_mul_f32_e32 v65, 0x3f68dda4, v37
	v_mul_f32_e32 v66, 0xbf0a6770, v37
	v_mul_f32_e32 v37, 0xbf4178ce, v37
	v_mul_f32_e32 v67, 0xbf7d64f0, v39
	v_mul_f32_e32 v68, 0x3e903f40, v39
	v_mul_f32_e32 v69, 0x3f68dda4, v39
	v_mul_f32_e32 v70, 0xbf0a6770, v39
	v_mul_f32_e32 v39, 0xbf4178ce, v39
	v_fma_f32 v25, 0x3ed4b147, v29, -v55
	v_fmac_f32_e32 v55, 0x3ed4b147, v29
	v_fma_f32 v33, 0xbf27a4f4, v29, -v57
	v_fmac_f32_e32 v57, 0xbf27a4f4, v29
	v_fma_f32 v97, 0xbf75a155, v29, -v59
	v_fmac_f32_e32 v59, 0xbf75a155, v29
	v_fma_f32 v98, 0xbe11bafb, v29, -v61
	v_fmac_f32_e32 v61, 0xbe11bafb, v29
	v_fma_f32 v99, 0x3f575c64, v29, -v36
	v_fmac_f32_e32 v36, 0x3f575c64, v29
	v_fmamk_f32 v29, v28, 0x3ed4b147, v56
	v_fma_f32 v56, 0x3ed4b147, v28, -v56
	v_fmamk_f32 v100, v28, 0xbf27a4f4, v58
	v_fma_f32 v58, 0xbf27a4f4, v28, -v58
	v_fmamk_f32 v101, v28, 0xbf75a155, v60
	v_fma_f32 v60, 0xbf75a155, v28, -v60
	v_fmamk_f32 v102, v28, 0xbe11bafb, v62
	v_fma_f32 v62, 0xbe11bafb, v28, -v62
	v_fmamk_f32 v103, v28, 0x3f575c64, v35
	v_add_f32_e32 v23, v87, v0
	v_add_f32_e32 v87, v88, v1
	v_add_f32_e32 v31, v31, v0
	v_add_f32_e32 v32, v32, v1
	v_add_f32_e32 v88, v89, v0
	v_add_f32_e32 v89, v90, v1
	v_add_f32_e32 v49, v49, v0
	v_add_f32_e32 v50, v50, v1
	v_add_f32_e32 v90, v91, v0
	v_add_f32_e32 v91, v92, v1
	v_add_f32_e32 v51, v51, v0
	v_add_f32_e32 v52, v52, v1
	v_add_f32_e32 v92, v93, v0
	v_add_f32_e32 v93, v94, v1
	v_add_f32_e32 v53, v53, v0
	v_add_f32_e32 v54, v54, v1
	v_add_f32_e32 v94, v95, v0
	v_add_f32_e32 v22, v96, v1
	v_fma_f32 v28, 0x3f575c64, v28, -v35
	v_add_f32_e32 v0, v34, v0
	v_add_f32_e32 v1, v24, v1
	v_add_f32_e32 v15, v20, v15
	v_add_f32_e32 v11, v13, v11
	v_mul_f32_e32 v71, 0xbf4178ce, v41
	v_mul_f32_e32 v72, 0x3f7d64f0, v41
	v_mul_f32_e32 v73, 0xbf0a6770, v41
	v_mul_f32_e32 v74, 0xbe903f40, v41
	v_mul_f32_e32 v41, 0x3f68dda4, v41
	v_mul_f32_e32 v75, 0xbf4178ce, v43
	v_mul_f32_e32 v76, 0x3f7d64f0, v43
	v_mul_f32_e32 v77, 0xbf0a6770, v43
	v_mul_f32_e32 v78, 0xbe903f40, v43
	v_mul_f32_e32 v43, 0x3f68dda4, v43
	v_fma_f32 v35, 0xbe11bafb, v38, -v63
	v_fmac_f32_e32 v63, 0xbe11bafb, v38
	v_fma_f32 v104, 0xbf75a155, v38, -v64
	v_fmac_f32_e32 v64, 0xbf75a155, v38
	v_fma_f32 v105, 0x3ed4b147, v38, -v65
	v_fmac_f32_e32 v65, 0x3ed4b147, v38
	v_fma_f32 v106, 0x3f575c64, v38, -v66
	v_fmac_f32_e32 v66, 0x3f575c64, v38
	v_fma_f32 v107, 0xbf27a4f4, v38, -v37
	v_fmac_f32_e32 v37, 0xbf27a4f4, v38
	v_fmamk_f32 v26, v40, 0xbe11bafb, v67
	v_fma_f32 v27, 0xbe11bafb, v40, -v67
	v_fmamk_f32 v38, v40, 0xbf75a155, v68
	v_fma_f32 v67, 0xbf75a155, v40, -v68
	v_fmamk_f32 v68, v40, 0x3ed4b147, v69
	v_fma_f32 v69, 0x3ed4b147, v40, -v69
	v_fmamk_f32 v108, v40, 0x3f575c64, v70
	v_fma_f32 v70, 0x3f575c64, v40, -v70
	v_fmamk_f32 v109, v40, 0xbf27a4f4, v39
	v_add_f32_e32 v14, v25, v23
	v_add_f32_e32 v21, v29, v87
	v_add_f32_e32 v23, v55, v31
	v_add_f32_e32 v24, v56, v32
	v_add_f32_e32 v25, v33, v88
	v_add_f32_e32 v29, v100, v89
	v_add_f32_e32 v31, v57, v49
	v_add_f32_e32 v32, v58, v50
	v_add_f32_e32 v33, v97, v90
	v_add_f32_e32 v34, v101, v91
	v_add_f32_e32 v49, v59, v51
	v_add_f32_e32 v50, v60, v52
	v_add_f32_e32 v51, v98, v92
	v_add_f32_e32 v52, v102, v93
	v_add_f32_e32 v53, v61, v53
	v_add_f32_e32 v54, v62, v54
	v_add_f32_e32 v55, v99, v94
	v_add_f32_e32 v22, v103, v22
	v_fma_f32 v39, 0xbf27a4f4, v40, -v39
	v_add_f32_e32 v0, v36, v0
	;; [unrolled: 52-line block ×3, first 2 shown]
	v_add_f32_e32 v1, v39, v1
	v_add_f32_e32 v38, v12, v10
	;; [unrolled: 1-line block ×3, first 2 shown]
	v_fma_f32 v44, 0xbf75a155, v46, -v79
	v_fmac_f32_e32 v79, 0xbf75a155, v46
	v_fma_f32 v118, 0x3f575c64, v46, -v80
	v_fmac_f32_e32 v80, 0x3f575c64, v46
	;; [unrolled: 2-line block ×5, first 2 shown]
	v_fmamk_f32 v46, v48, 0xbf75a155, v83
	v_fmamk_f32 v122, v48, 0x3f575c64, v84
	v_fma_f32 v84, 0x3f575c64, v48, -v84
	v_fmamk_f32 v123, v48, 0xbf27a4f4, v85
	v_fma_f32 v85, 0xbf27a4f4, v48, -v85
	v_fmamk_f32 v124, v48, 0x3ed4b147, v86
	v_fmamk_f32 v125, v48, 0xbe11bafb, v47
	v_add_f32_e32 v11, v40, v13
	v_add_f32_e32 v13, v42, v14
	;; [unrolled: 1-line block ×18, first 2 shown]
	v_fma_f32 v86, 0x3ed4b147, v48, -v86
	v_fma_f32 v47, 0xbe11bafb, v48, -v47
	v_add_f32_e32 v36, v41, v0
	v_add_f32_e32 v37, v43, v1
	v_fma_f32 v83, 0xbf75a155, v48, -v83
	v_add_f32_e32 v8, v38, v8
	v_add_f32_e32 v6, v6, v4
	v_add_nc_u32_e32 v48, 0x400, v17
	v_add_f32_e32 v0, v44, v11
	v_add_f32_e32 v1, v46, v13
	;; [unrolled: 1-line block ×22, first 2 shown]
	ds_write2_b64 v48, v[11:12], v[20:21] offset0:48 offset1:136
	ds_write2_b64 v126, v[24:25], v[28:29] offset0:96 offset1:184
	ds_write2_b64 v3, v[31:32], v[26:27] offset0:16 offset1:104
	ds_write2_b64 v2, v[22:23], v[13:14] offset0:64 offset1:152
	ds_write_b64 v17, v[9:10] offset:7040
	ds_write2_b64 v17, v[4:5], v[0:1] offset1:88
	s_waitcnt lgkmcnt(0)
	s_barrier
	buffer_gl0_inv
	s_and_saveexec_b32 s0, vcc_lo
	s_cbranch_execz .LBB0_31
; %bb.30:
	v_lshl_add_u32 v20, v16, 3, v30
	v_mov_b32_e32 v17, 0
	v_add_nc_u32_e32 v4, 0x58, v16
	v_add_co_u32 v21, vcc_lo, s2, v18
	ds_read2_b64 v[0:3], v20 offset1:88
	v_mov_b32_e32 v5, v17
	v_add_nc_u32_e32 v6, 0x400, v20
	v_lshlrev_b64 v[10:11], 3, v[16:17]
	v_add_nc_u32_e32 v8, 0xb0, v16
	v_mov_b32_e32 v9, v17
	v_lshlrev_b64 v[12:13], 3, v[4:5]
	ds_read2_b64 v[4:7], v6 offset0:48 offset1:136
	v_add_co_ci_u32_e32 v22, vcc_lo, s3, v19, vcc_lo
	v_add_co_u32 v10, vcc_lo, v21, v10
	v_lshlrev_b64 v[8:9], 3, v[8:9]
	v_add_co_ci_u32_e32 v11, vcc_lo, v22, v11, vcc_lo
	v_add_co_u32 v12, vcc_lo, v21, v12
	v_add_co_ci_u32_e32 v13, vcc_lo, v22, v13, vcc_lo
	v_add_nc_u32_e32 v14, 0x800, v20
	s_waitcnt lgkmcnt(1)
	global_store_dwordx2 v[10:11], v[0:1], off
	v_add_co_u32 v0, vcc_lo, v21, v8
	v_add_co_ci_u32_e32 v1, vcc_lo, v22, v9, vcc_lo
	v_add_nc_u32_e32 v8, 0x108, v16
	v_mov_b32_e32 v9, v17
	v_add_nc_u32_e32 v10, 0x160, v16
	v_mov_b32_e32 v11, v17
	global_store_dwordx2 v[12:13], v[2:3], off
	s_waitcnt lgkmcnt(0)
	global_store_dwordx2 v[0:1], v[4:5], off
	ds_read2_b64 v[0:3], v14 offset0:96 offset1:184
	v_lshlrev_b64 v[4:5], 3, v[8:9]
	v_add_nc_u32_e32 v12, 0x210, v16
	v_lshlrev_b64 v[8:9], 3, v[10:11]
	v_add_nc_u32_e32 v10, 0x1b8, v16
	v_mov_b32_e32 v13, v17
	v_add_nc_u32_e32 v14, 0x1000, v20
	v_add_co_u32 v4, vcc_lo, v21, v4
	v_lshlrev_b64 v[10:11], 3, v[10:11]
	v_add_co_ci_u32_e32 v5, vcc_lo, v22, v5, vcc_lo
	v_add_co_u32 v8, vcc_lo, v21, v8
	v_add_co_ci_u32_e32 v9, vcc_lo, v22, v9, vcc_lo
	v_add_co_u32 v10, vcc_lo, v21, v10
	v_add_co_ci_u32_e32 v11, vcc_lo, v22, v11, vcc_lo
	global_store_dwordx2 v[4:5], v[6:7], off
	s_waitcnt lgkmcnt(0)
	global_store_dwordx2 v[8:9], v[0:1], off
	global_store_dwordx2 v[10:11], v[2:3], off
	v_lshlrev_b64 v[4:5], 3, v[12:13]
	ds_read2_b64 v[0:3], v14 offset0:16 offset1:104
	v_add_nc_u32_e32 v6, 0x268, v16
	v_mov_b32_e32 v7, v17
	v_add_nc_u32_e32 v14, 0x1400, v20
	v_add_nc_u32_e32 v8, 0x2c0, v16
	v_mov_b32_e32 v9, v17
	v_add_co_u32 v10, vcc_lo, v21, v4
	v_add_co_ci_u32_e32 v11, vcc_lo, v22, v5, vcc_lo
	v_lshlrev_b64 v[12:13], 3, v[6:7]
	ds_read2_b64 v[4:7], v14 offset0:64 offset1:152
	v_add_nc_u32_e32 v14, 0x318, v16
	v_mov_b32_e32 v15, v17
	ds_read_b64 v[18:19], v20 offset:7040
	v_lshlrev_b64 v[8:9], 3, v[8:9]
	v_add_nc_u32_e32 v16, 0x370, v16
	v_add_co_u32 v12, vcc_lo, v21, v12
	v_lshlrev_b64 v[14:15], 3, v[14:15]
	v_add_co_ci_u32_e32 v13, vcc_lo, v22, v13, vcc_lo
	v_add_co_u32 v8, vcc_lo, v21, v8
	v_lshlrev_b64 v[16:17], 3, v[16:17]
	v_add_co_ci_u32_e32 v9, vcc_lo, v22, v9, vcc_lo
	v_add_co_u32 v14, vcc_lo, v21, v14
	v_add_co_ci_u32_e32 v15, vcc_lo, v22, v15, vcc_lo
	v_add_co_u32 v16, vcc_lo, v21, v16
	v_add_co_ci_u32_e32 v17, vcc_lo, v22, v17, vcc_lo
	s_waitcnt lgkmcnt(2)
	global_store_dwordx2 v[10:11], v[0:1], off
	global_store_dwordx2 v[12:13], v[2:3], off
	s_waitcnt lgkmcnt(1)
	global_store_dwordx2 v[8:9], v[4:5], off
	global_store_dwordx2 v[14:15], v[6:7], off
	s_waitcnt lgkmcnt(0)
	global_store_dwordx2 v[16:17], v[18:19], off
.LBB0_31:
	s_endpgm
	.section	.rodata,"a",@progbits
	.p2align	6, 0x0
	.amdhsa_kernel fft_rtc_fwd_len968_factors_2_2_2_11_11_wgs_176_tpt_88_sp_ip_CI_unitstride_sbrr_C2R_dirReg
		.amdhsa_group_segment_fixed_size 0
		.amdhsa_private_segment_fixed_size 0
		.amdhsa_kernarg_size 88
		.amdhsa_user_sgpr_count 6
		.amdhsa_user_sgpr_private_segment_buffer 1
		.amdhsa_user_sgpr_dispatch_ptr 0
		.amdhsa_user_sgpr_queue_ptr 0
		.amdhsa_user_sgpr_kernarg_segment_ptr 1
		.amdhsa_user_sgpr_dispatch_id 0
		.amdhsa_user_sgpr_flat_scratch_init 0
		.amdhsa_user_sgpr_private_segment_size 0
		.amdhsa_wavefront_size32 1
		.amdhsa_uses_dynamic_stack 0
		.amdhsa_system_sgpr_private_segment_wavefront_offset 0
		.amdhsa_system_sgpr_workgroup_id_x 1
		.amdhsa_system_sgpr_workgroup_id_y 0
		.amdhsa_system_sgpr_workgroup_id_z 0
		.amdhsa_system_sgpr_workgroup_info 0
		.amdhsa_system_vgpr_workitem_id 0
		.amdhsa_next_free_vgpr 128
		.amdhsa_next_free_sgpr 21
		.amdhsa_reserve_vcc 1
		.amdhsa_reserve_flat_scratch 0
		.amdhsa_float_round_mode_32 0
		.amdhsa_float_round_mode_16_64 0
		.amdhsa_float_denorm_mode_32 3
		.amdhsa_float_denorm_mode_16_64 3
		.amdhsa_dx10_clamp 1
		.amdhsa_ieee_mode 1
		.amdhsa_fp16_overflow 0
		.amdhsa_workgroup_processor_mode 1
		.amdhsa_memory_ordered 1
		.amdhsa_forward_progress 0
		.amdhsa_shared_vgpr_count 0
		.amdhsa_exception_fp_ieee_invalid_op 0
		.amdhsa_exception_fp_denorm_src 0
		.amdhsa_exception_fp_ieee_div_zero 0
		.amdhsa_exception_fp_ieee_overflow 0
		.amdhsa_exception_fp_ieee_underflow 0
		.amdhsa_exception_fp_ieee_inexact 0
		.amdhsa_exception_int_div_zero 0
	.end_amdhsa_kernel
	.text
.Lfunc_end0:
	.size	fft_rtc_fwd_len968_factors_2_2_2_11_11_wgs_176_tpt_88_sp_ip_CI_unitstride_sbrr_C2R_dirReg, .Lfunc_end0-fft_rtc_fwd_len968_factors_2_2_2_11_11_wgs_176_tpt_88_sp_ip_CI_unitstride_sbrr_C2R_dirReg
                                        ; -- End function
	.section	.AMDGPU.csdata,"",@progbits
; Kernel info:
; codeLenInByte = 9564
; NumSgprs: 23
; NumVgprs: 128
; ScratchSize: 0
; MemoryBound: 0
; FloatMode: 240
; IeeeMode: 1
; LDSByteSize: 0 bytes/workgroup (compile time only)
; SGPRBlocks: 2
; VGPRBlocks: 15
; NumSGPRsForWavesPerEU: 23
; NumVGPRsForWavesPerEU: 128
; Occupancy: 8
; WaveLimiterHint : 1
; COMPUTE_PGM_RSRC2:SCRATCH_EN: 0
; COMPUTE_PGM_RSRC2:USER_SGPR: 6
; COMPUTE_PGM_RSRC2:TRAP_HANDLER: 0
; COMPUTE_PGM_RSRC2:TGID_X_EN: 1
; COMPUTE_PGM_RSRC2:TGID_Y_EN: 0
; COMPUTE_PGM_RSRC2:TGID_Z_EN: 0
; COMPUTE_PGM_RSRC2:TIDIG_COMP_CNT: 0
	.text
	.p2alignl 6, 3214868480
	.fill 48, 4, 3214868480
	.type	__hip_cuid_972c57cc152085b,@object ; @__hip_cuid_972c57cc152085b
	.section	.bss,"aw",@nobits
	.globl	__hip_cuid_972c57cc152085b
__hip_cuid_972c57cc152085b:
	.byte	0                               ; 0x0
	.size	__hip_cuid_972c57cc152085b, 1

	.ident	"AMD clang version 19.0.0git (https://github.com/RadeonOpenCompute/llvm-project roc-6.4.0 25133 c7fe45cf4b819c5991fe208aaa96edf142730f1d)"
	.section	".note.GNU-stack","",@progbits
	.addrsig
	.addrsig_sym __hip_cuid_972c57cc152085b
	.amdgpu_metadata
---
amdhsa.kernels:
  - .args:
      - .actual_access:  read_only
        .address_space:  global
        .offset:         0
        .size:           8
        .value_kind:     global_buffer
      - .offset:         8
        .size:           8
        .value_kind:     by_value
      - .actual_access:  read_only
        .address_space:  global
        .offset:         16
        .size:           8
        .value_kind:     global_buffer
      - .actual_access:  read_only
        .address_space:  global
        .offset:         24
        .size:           8
        .value_kind:     global_buffer
      - .offset:         32
        .size:           8
        .value_kind:     by_value
      - .actual_access:  read_only
        .address_space:  global
        .offset:         40
        .size:           8
        .value_kind:     global_buffer
      - .actual_access:  read_only
        .address_space:  global
        .offset:         48
        .size:           8
        .value_kind:     global_buffer
      - .offset:         56
        .size:           4
        .value_kind:     by_value
      - .actual_access:  read_only
        .address_space:  global
        .offset:         64
        .size:           8
        .value_kind:     global_buffer
      - .actual_access:  read_only
        .address_space:  global
        .offset:         72
        .size:           8
        .value_kind:     global_buffer
      - .address_space:  global
        .offset:         80
        .size:           8
        .value_kind:     global_buffer
    .group_segment_fixed_size: 0
    .kernarg_segment_align: 8
    .kernarg_segment_size: 88
    .language:       OpenCL C
    .language_version:
      - 2
      - 0
    .max_flat_workgroup_size: 176
    .name:           fft_rtc_fwd_len968_factors_2_2_2_11_11_wgs_176_tpt_88_sp_ip_CI_unitstride_sbrr_C2R_dirReg
    .private_segment_fixed_size: 0
    .sgpr_count:     23
    .sgpr_spill_count: 0
    .symbol:         fft_rtc_fwd_len968_factors_2_2_2_11_11_wgs_176_tpt_88_sp_ip_CI_unitstride_sbrr_C2R_dirReg.kd
    .uniform_work_group_size: 1
    .uses_dynamic_stack: false
    .vgpr_count:     128
    .vgpr_spill_count: 0
    .wavefront_size: 32
    .workgroup_processor_mode: 1
amdhsa.target:   amdgcn-amd-amdhsa--gfx1030
amdhsa.version:
  - 1
  - 2
...

	.end_amdgpu_metadata
